;; amdgpu-corpus repo=ROCm/rocFFT kind=compiled arch=gfx906 opt=O3
	.text
	.amdgcn_target "amdgcn-amd-amdhsa--gfx906"
	.amdhsa_code_object_version 6
	.protected	fft_rtc_back_len34_factors_17_2_wgs_255_tpt_17_halfLds_half_op_CI_CI_sbrr_dirReg ; -- Begin function fft_rtc_back_len34_factors_17_2_wgs_255_tpt_17_halfLds_half_op_CI_CI_sbrr_dirReg
	.globl	fft_rtc_back_len34_factors_17_2_wgs_255_tpt_17_halfLds_half_op_CI_CI_sbrr_dirReg
	.p2align	8
	.type	fft_rtc_back_len34_factors_17_2_wgs_255_tpt_17_halfLds_half_op_CI_CI_sbrr_dirReg,@function
fft_rtc_back_len34_factors_17_2_wgs_255_tpt_17_halfLds_half_op_CI_CI_sbrr_dirReg: ; @fft_rtc_back_len34_factors_17_2_wgs_255_tpt_17_halfLds_half_op_CI_CI_sbrr_dirReg
; %bb.0:
	s_load_dwordx4 s[16:19], s[4:5], 0x18
	s_load_dwordx4 s[12:15], s[4:5], 0x0
	;; [unrolled: 1-line block ×3, first 2 shown]
	v_mul_u32_u24_e32 v1, 0xf10, v0
	v_lshrrev_b32_e32 v1, 16, v1
	v_mad_u64_u32 v[6:7], s[0:1], s6, 15, v[1:2]
	s_waitcnt lgkmcnt(0)
	s_load_dwordx2 s[20:21], s[16:17], 0x0
	s_load_dwordx2 s[2:3], s[18:19], 0x0
	v_mov_b32_e32 v10, 0
	v_cmp_lt_u64_e64 s[0:1], s[14:15], 2
	v_mov_b32_e32 v8, 0
	v_mov_b32_e32 v7, v10
	;; [unrolled: 1-line block ×5, first 2 shown]
	s_and_b64 vcc, exec, s[0:1]
	v_mov_b32_e32 v2, v9
	v_mov_b32_e32 v4, v7
	s_cbranch_vccnz .LBB0_8
; %bb.1:
	s_load_dwordx2 s[0:1], s[4:5], 0x10
	s_add_u32 s6, s18, 8
	s_addc_u32 s7, s19, 0
	s_add_u32 s22, s16, 8
	s_addc_u32 s23, s17, 0
	v_mov_b32_e32 v8, 0
	s_waitcnt lgkmcnt(0)
	s_add_u32 s24, s0, 8
	v_mov_b32_e32 v9, 0
	v_mov_b32_e32 v1, v8
	;; [unrolled: 1-line block ×3, first 2 shown]
	s_addc_u32 s25, s1, 0
	s_mov_b64 s[26:27], 1
	v_mov_b32_e32 v2, v9
	v_mov_b32_e32 v12, v6
.LBB0_2:                                ; =>This Inner Loop Header: Depth=1
	s_load_dwordx2 s[28:29], s[24:25], 0x0
                                        ; implicit-def: $vgpr3_vgpr4
	s_waitcnt lgkmcnt(0)
	v_or_b32_e32 v11, s29, v13
	v_cmp_ne_u64_e32 vcc, 0, v[10:11]
	s_and_saveexec_b64 s[0:1], vcc
	s_xor_b64 s[30:31], exec, s[0:1]
	s_cbranch_execz .LBB0_4
; %bb.3:                                ;   in Loop: Header=BB0_2 Depth=1
	v_cvt_f32_u32_e32 v3, s28
	v_cvt_f32_u32_e32 v4, s29
	s_sub_u32 s0, 0, s28
	s_subb_u32 s1, 0, s29
	v_mac_f32_e32 v3, 0x4f800000, v4
	v_rcp_f32_e32 v3, v3
	v_mul_f32_e32 v3, 0x5f7ffffc, v3
	v_mul_f32_e32 v4, 0x2f800000, v3
	v_trunc_f32_e32 v4, v4
	v_mac_f32_e32 v3, 0xcf800000, v4
	v_cvt_u32_f32_e32 v4, v4
	v_cvt_u32_f32_e32 v3, v3
	v_mul_lo_u32 v5, s0, v4
	v_mul_hi_u32 v7, s0, v3
	v_mul_lo_u32 v14, s1, v3
	v_mul_lo_u32 v11, s0, v3
	v_add_u32_e32 v5, v7, v5
	v_add_u32_e32 v5, v5, v14
	v_mul_hi_u32 v7, v3, v11
	v_mul_lo_u32 v14, v3, v5
	v_mul_hi_u32 v16, v3, v5
	v_mul_hi_u32 v15, v4, v11
	v_mul_lo_u32 v11, v4, v11
	v_mul_hi_u32 v17, v4, v5
	v_add_co_u32_e32 v7, vcc, v7, v14
	v_addc_co_u32_e32 v14, vcc, 0, v16, vcc
	v_mul_lo_u32 v5, v4, v5
	v_add_co_u32_e32 v7, vcc, v7, v11
	v_addc_co_u32_e32 v7, vcc, v14, v15, vcc
	v_addc_co_u32_e32 v11, vcc, 0, v17, vcc
	v_add_co_u32_e32 v5, vcc, v7, v5
	v_addc_co_u32_e32 v7, vcc, 0, v11, vcc
	v_add_co_u32_e32 v3, vcc, v3, v5
	v_addc_co_u32_e32 v4, vcc, v4, v7, vcc
	v_mul_lo_u32 v5, s0, v4
	v_mul_hi_u32 v7, s0, v3
	v_mul_lo_u32 v11, s1, v3
	v_mul_lo_u32 v14, s0, v3
	v_add_u32_e32 v5, v7, v5
	v_add_u32_e32 v5, v5, v11
	v_mul_lo_u32 v15, v3, v5
	v_mul_hi_u32 v16, v3, v14
	v_mul_hi_u32 v17, v3, v5
	;; [unrolled: 1-line block ×3, first 2 shown]
	v_mul_lo_u32 v14, v4, v14
	v_mul_hi_u32 v7, v4, v5
	v_add_co_u32_e32 v15, vcc, v16, v15
	v_addc_co_u32_e32 v16, vcc, 0, v17, vcc
	v_mul_lo_u32 v5, v4, v5
	v_add_co_u32_e32 v14, vcc, v15, v14
	v_addc_co_u32_e32 v11, vcc, v16, v11, vcc
	v_addc_co_u32_e32 v7, vcc, 0, v7, vcc
	v_add_co_u32_e32 v5, vcc, v11, v5
	v_addc_co_u32_e32 v7, vcc, 0, v7, vcc
	v_add_co_u32_e32 v5, vcc, v3, v5
	v_addc_co_u32_e32 v7, vcc, v4, v7, vcc
	v_mad_u64_u32 v[3:4], s[0:1], v12, v7, 0
	v_mul_hi_u32 v11, v12, v5
	v_mad_u64_u32 v[14:15], s[0:1], v13, v7, 0
	v_add_co_u32_e32 v11, vcc, v11, v3
	v_addc_co_u32_e32 v16, vcc, 0, v4, vcc
	v_mad_u64_u32 v[3:4], s[0:1], v13, v5, 0
	v_add_co_u32_e32 v3, vcc, v11, v3
	v_addc_co_u32_e32 v3, vcc, v16, v4, vcc
	v_addc_co_u32_e32 v4, vcc, 0, v15, vcc
	v_add_co_u32_e32 v5, vcc, v3, v14
	v_addc_co_u32_e32 v7, vcc, 0, v4, vcc
	v_mul_lo_u32 v11, s29, v5
	v_mul_lo_u32 v14, s28, v7
	v_mad_u64_u32 v[3:4], s[0:1], s28, v5, 0
	v_add3_u32 v4, v4, v14, v11
	v_sub_u32_e32 v11, v13, v4
	v_mov_b32_e32 v14, s29
	v_sub_co_u32_e32 v3, vcc, v12, v3
	v_subb_co_u32_e64 v11, s[0:1], v11, v14, vcc
	v_subrev_co_u32_e64 v14, s[0:1], s28, v3
	v_subbrev_co_u32_e64 v11, s[0:1], 0, v11, s[0:1]
	v_cmp_le_u32_e64 s[0:1], s29, v11
	v_cndmask_b32_e64 v15, 0, -1, s[0:1]
	v_cmp_le_u32_e64 s[0:1], s28, v14
	v_cndmask_b32_e64 v14, 0, -1, s[0:1]
	v_cmp_eq_u32_e64 s[0:1], s29, v11
	v_cndmask_b32_e64 v11, v15, v14, s[0:1]
	v_add_co_u32_e64 v14, s[0:1], 2, v5
	v_addc_co_u32_e64 v15, s[0:1], 0, v7, s[0:1]
	v_add_co_u32_e64 v16, s[0:1], 1, v5
	v_addc_co_u32_e64 v17, s[0:1], 0, v7, s[0:1]
	v_subb_co_u32_e32 v4, vcc, v13, v4, vcc
	v_cmp_ne_u32_e64 s[0:1], 0, v11
	v_cmp_le_u32_e32 vcc, s29, v4
	v_cndmask_b32_e64 v11, v17, v15, s[0:1]
	v_cndmask_b32_e64 v15, 0, -1, vcc
	v_cmp_le_u32_e32 vcc, s28, v3
	v_cndmask_b32_e64 v3, 0, -1, vcc
	v_cmp_eq_u32_e32 vcc, s29, v4
	v_cndmask_b32_e32 v3, v15, v3, vcc
	v_cmp_ne_u32_e32 vcc, 0, v3
	v_cndmask_b32_e64 v3, v16, v14, s[0:1]
	v_cndmask_b32_e32 v4, v7, v11, vcc
	v_cndmask_b32_e32 v3, v5, v3, vcc
.LBB0_4:                                ;   in Loop: Header=BB0_2 Depth=1
	s_andn2_saveexec_b64 s[0:1], s[30:31]
	s_cbranch_execz .LBB0_6
; %bb.5:                                ;   in Loop: Header=BB0_2 Depth=1
	v_cvt_f32_u32_e32 v3, s28
	s_sub_i32 s30, 0, s28
	v_rcp_iflag_f32_e32 v3, v3
	v_mul_f32_e32 v3, 0x4f7ffffe, v3
	v_cvt_u32_f32_e32 v3, v3
	v_mul_lo_u32 v4, s30, v3
	v_mul_hi_u32 v4, v3, v4
	v_add_u32_e32 v3, v3, v4
	v_mul_hi_u32 v3, v12, v3
	v_mul_lo_u32 v4, v3, s28
	v_add_u32_e32 v5, 1, v3
	v_sub_u32_e32 v4, v12, v4
	v_subrev_u32_e32 v7, s28, v4
	v_cmp_le_u32_e32 vcc, s28, v4
	v_cndmask_b32_e32 v4, v4, v7, vcc
	v_cndmask_b32_e32 v3, v3, v5, vcc
	v_add_u32_e32 v5, 1, v3
	v_cmp_le_u32_e32 vcc, s28, v4
	v_cndmask_b32_e32 v3, v3, v5, vcc
	v_mov_b32_e32 v4, v10
.LBB0_6:                                ;   in Loop: Header=BB0_2 Depth=1
	s_or_b64 exec, exec, s[0:1]
	v_mul_lo_u32 v5, v4, s28
	v_mul_lo_u32 v7, v3, s29
	v_mad_u64_u32 v[14:15], s[0:1], v3, s28, 0
	s_load_dwordx2 s[0:1], s[22:23], 0x0
	s_load_dwordx2 s[28:29], s[6:7], 0x0
	v_add3_u32 v5, v15, v7, v5
	v_sub_co_u32_e32 v7, vcc, v12, v14
	v_subb_co_u32_e32 v5, vcc, v13, v5, vcc
	s_waitcnt lgkmcnt(0)
	v_mul_lo_u32 v11, s0, v5
	v_mul_lo_u32 v12, s1, v7
	v_mad_u64_u32 v[8:9], s[0:1], s0, v7, v[8:9]
	s_add_u32 s26, s26, 1
	s_addc_u32 s27, s27, 0
	s_add_u32 s6, s6, 8
	v_mul_lo_u32 v5, s28, v5
	v_mul_lo_u32 v13, s29, v7
	v_mad_u64_u32 v[1:2], s[0:1], s28, v7, v[1:2]
	v_add3_u32 v9, v12, v9, v11
	s_addc_u32 s7, s7, 0
	v_mov_b32_e32 v11, s14
	s_add_u32 s22, s22, 8
	v_mov_b32_e32 v12, s15
	s_addc_u32 s23, s23, 0
	v_cmp_ge_u64_e32 vcc, s[26:27], v[11:12]
	s_add_u32 s24, s24, 8
	v_add3_u32 v2, v13, v2, v5
	s_addc_u32 s25, s25, 0
	s_cbranch_vccnz .LBB0_8
; %bb.7:                                ;   in Loop: Header=BB0_2 Depth=1
	v_mov_b32_e32 v13, v4
	v_mov_b32_e32 v12, v3
	s_branch .LBB0_2
.LBB0_8:
	s_lshl_b64 s[22:23], s[14:15], 3
	s_load_dwordx2 s[0:1], s[4:5], 0x28
	s_add_u32 s4, s18, s22
	s_mov_b32 s5, 0xf0f0f10
	v_mul_hi_u32 v5, v0, s5
	s_addc_u32 s5, s19, s23
	s_load_dwordx2 s[4:5], s[4:5], 0x0
	s_waitcnt lgkmcnt(0)
	v_cmp_gt_u64_e32 vcc, s[0:1], v[3:4]
	v_mul_u32_u24_e32 v5, 17, v5
	v_sub_u32_e32 v5, v0, v5
	v_mov_b32_e32 v0, 0
	v_mov_b32_e32 v7, 0
	;; [unrolled: 1-line block ×3, first 2 shown]
                                        ; implicit-def: $vgpr36
                                        ; implicit-def: $vgpr16
                                        ; implicit-def: $vgpr35
                                        ; implicit-def: $vgpr15
                                        ; implicit-def: $vgpr34
                                        ; implicit-def: $vgpr14
                                        ; implicit-def: $vgpr31
                                        ; implicit-def: $vgpr13
                                        ; implicit-def: $vgpr30
                                        ; implicit-def: $vgpr12
                                        ; implicit-def: $vgpr29
                                        ; implicit-def: $vgpr11
                                        ; implicit-def: $vgpr27
                                        ; implicit-def: $vgpr10
                                        ; implicit-def: $vgpr26
                                        ; implicit-def: $vgpr18
                                        ; implicit-def: $vgpr42
                                        ; implicit-def: $vgpr32
                                        ; implicit-def: $vgpr41
                                        ; implicit-def: $vgpr25
                                        ; implicit-def: $vgpr40
                                        ; implicit-def: $vgpr24
                                        ; implicit-def: $vgpr39
                                        ; implicit-def: $vgpr23
                                        ; implicit-def: $vgpr38
                                        ; implicit-def: $vgpr22
                                        ; implicit-def: $vgpr37
                                        ; implicit-def: $vgpr21
                                        ; implicit-def: $vgpr33
                                        ; implicit-def: $vgpr20
                                        ; implicit-def: $vgpr28
                                        ; implicit-def: $vgpr19
	s_and_saveexec_b64 s[6:7], vcc
	s_cbranch_execz .LBB0_12
; %bb.9:
	v_cmp_gt_u32_e64 s[0:1], 2, v5
	v_mov_b32_e32 v17, 0
	v_mov_b32_e32 v0, 0
                                        ; implicit-def: $vgpr19
                                        ; implicit-def: $vgpr28
                                        ; implicit-def: $vgpr20
                                        ; implicit-def: $vgpr33
                                        ; implicit-def: $vgpr21
                                        ; implicit-def: $vgpr37
                                        ; implicit-def: $vgpr22
                                        ; implicit-def: $vgpr38
                                        ; implicit-def: $vgpr23
                                        ; implicit-def: $vgpr39
                                        ; implicit-def: $vgpr24
                                        ; implicit-def: $vgpr40
                                        ; implicit-def: $vgpr25
                                        ; implicit-def: $vgpr41
                                        ; implicit-def: $vgpr32
                                        ; implicit-def: $vgpr42
                                        ; implicit-def: $vgpr18
                                        ; implicit-def: $vgpr26
                                        ; implicit-def: $vgpr10
                                        ; implicit-def: $vgpr27
                                        ; implicit-def: $vgpr11
                                        ; implicit-def: $vgpr29
                                        ; implicit-def: $vgpr12
                                        ; implicit-def: $vgpr30
                                        ; implicit-def: $vgpr13
                                        ; implicit-def: $vgpr31
                                        ; implicit-def: $vgpr14
                                        ; implicit-def: $vgpr34
                                        ; implicit-def: $vgpr15
                                        ; implicit-def: $vgpr35
                                        ; implicit-def: $vgpr16
                                        ; implicit-def: $vgpr36
	s_and_saveexec_b64 s[14:15], s[0:1]
	s_cbranch_execz .LBB0_11
; %bb.10:
	s_add_u32 s0, s16, s22
	s_addc_u32 s1, s17, s23
	s_load_dwordx2 s[0:1], s[0:1], 0x0
	v_mad_u64_u32 v[10:11], s[16:17], s20, v5, 0
	v_or_b32_e32 v17, 6, v5
	v_or_b32_e32 v36, 18, v5
	s_waitcnt lgkmcnt(0)
	v_mul_lo_u32 v7, s1, v3
	v_mul_lo_u32 v16, s0, v4
	v_mad_u64_u32 v[12:13], s[0:1], s0, v3, 0
	v_mov_b32_e32 v0, v11
	v_mad_u64_u32 v[14:15], s[0:1], s21, v5, v[0:1]
	v_add3_u32 v13, v13, v16, v7
	v_lshlrev_b64 v[12:13], 2, v[12:13]
	v_mov_b32_e32 v11, v14
	v_mov_b32_e32 v0, s9
	v_add_co_u32_e64 v14, s[0:1], s8, v12
	v_lshlrev_b64 v[7:8], 2, v[8:9]
	v_or_b32_e32 v9, 2, v5
	v_addc_co_u32_e64 v0, s[0:1], v0, v13, s[0:1]
	v_mad_u64_u32 v[12:13], s[0:1], s20, v9, 0
	v_add_co_u32_e64 v44, s[0:1], v14, v7
	v_addc_co_u32_e64 v45, s[0:1], v0, v8, s[0:1]
	v_mov_b32_e32 v0, v13
	v_lshlrev_b64 v[7:8], 2, v[10:11]
	v_mad_u64_u32 v[9:10], s[0:1], s21, v9, v[0:1]
	v_or_b32_e32 v14, 4, v5
	v_mad_u64_u32 v[10:11], s[0:1], s20, v14, 0
	v_add_co_u32_e64 v7, s[0:1], v44, v7
	v_mov_b32_e32 v0, v11
	v_addc_co_u32_e64 v8, s[0:1], v45, v8, s[0:1]
	v_mad_u64_u32 v[14:15], s[0:1], s21, v14, v[0:1]
	v_mad_u64_u32 v[15:16], s[0:1], s20, v17, 0
	v_mov_b32_e32 v13, v9
	v_lshlrev_b64 v[12:13], 2, v[12:13]
	v_mov_b32_e32 v11, v14
	v_add_co_u32_e64 v18, s[0:1], v44, v12
	v_mov_b32_e32 v0, v16
	v_addc_co_u32_e64 v19, s[0:1], v45, v13, s[0:1]
	v_lshlrev_b64 v[9:10], 2, v[10:11]
	v_mad_u64_u32 v[11:12], s[0:1], s21, v17, v[0:1]
	v_or_b32_e32 v14, 8, v5
	v_mad_u64_u32 v[12:13], s[0:1], s20, v14, 0
	v_add_co_u32_e64 v20, s[0:1], v44, v9
	v_mov_b32_e32 v0, v13
	v_addc_co_u32_e64 v21, s[0:1], v45, v10, s[0:1]
	v_mov_b32_e32 v16, v11
	v_mad_u64_u32 v[13:14], s[0:1], s21, v14, v[0:1]
	v_or_b32_e32 v11, 10, v5
	v_lshlrev_b64 v[9:10], 2, v[15:16]
	v_mad_u64_u32 v[14:15], s[0:1], s20, v11, 0
	v_add_co_u32_e64 v22, s[0:1], v44, v9
	v_mov_b32_e32 v0, v15
	v_addc_co_u32_e64 v23, s[0:1], v45, v10, s[0:1]
	v_lshlrev_b64 v[9:10], 2, v[12:13]
	v_mad_u64_u32 v[11:12], s[0:1], s21, v11, v[0:1]
	v_or_b32_e32 v16, 12, v5
	v_mad_u64_u32 v[12:13], s[0:1], s20, v16, 0
	v_add_co_u32_e64 v24, s[0:1], v44, v9
	v_mov_b32_e32 v15, v11
	v_mov_b32_e32 v0, v13
	v_addc_co_u32_e64 v25, s[0:1], v45, v10, s[0:1]
	v_lshlrev_b64 v[9:10], 2, v[14:15]
	v_mad_u64_u32 v[13:14], s[0:1], s21, v16, v[0:1]
	v_or_b32_e32 v11, 14, v5
	v_mad_u64_u32 v[14:15], s[0:1], s20, v11, 0
	v_add_co_u32_e64 v26, s[0:1], v44, v9
	v_mov_b32_e32 v0, v15
	v_addc_co_u32_e64 v27, s[0:1], v45, v10, s[0:1]
	v_lshlrev_b64 v[9:10], 2, v[12:13]
	v_mad_u64_u32 v[11:12], s[0:1], s21, v11, v[0:1]
	v_add_co_u32_e64 v28, s[0:1], v44, v9
	v_mov_b32_e32 v15, v11
	v_or_b32_e32 v11, 16, v5
	v_addc_co_u32_e64 v29, s[0:1], v45, v10, s[0:1]
	v_mad_u64_u32 v[30:31], s[0:1], s20, v11, 0
	v_lshlrev_b64 v[9:10], 2, v[14:15]
	v_add_co_u32_e64 v32, s[0:1], v44, v9
	v_addc_co_u32_e64 v33, s[0:1], v45, v10, s[0:1]
	v_mov_b32_e32 v0, v31
	v_mad_u64_u32 v[34:35], s[0:1], s20, v36, 0
	v_mad_u64_u32 v[9:10], s[0:1], s21, v11, v[0:1]
	v_mov_b32_e32 v0, v35
	global_load_dword v17, v[7:8], off
	global_load_dword v16, v[18:19], off
	;; [unrolled: 1-line block ×8, first 2 shown]
	v_mov_b32_e32 v31, v9
	v_mad_u64_u32 v[18:19], s[0:1], s21, v36, v[0:1]
	v_or_b32_e32 v9, 20, v5
	v_mad_u64_u32 v[19:20], s[0:1], s20, v9, 0
	v_lshlrev_b64 v[7:8], 2, v[30:31]
	v_mov_b32_e32 v35, v18
	v_add_co_u32_e64 v7, s[0:1], v44, v7
	v_mov_b32_e32 v0, v20
	v_addc_co_u32_e64 v8, s[0:1], v45, v8, s[0:1]
	v_mad_u64_u32 v[23:24], s[0:1], s21, v9, v[0:1]
	v_or_b32_e32 v9, 22, v5
	v_mad_u64_u32 v[24:25], s[0:1], s20, v9, 0
	v_lshlrev_b64 v[21:22], 2, v[34:35]
	v_mov_b32_e32 v20, v23
	v_add_co_u32_e64 v26, s[0:1], v44, v21
	v_mov_b32_e32 v0, v25
	v_addc_co_u32_e64 v27, s[0:1], v45, v22, s[0:1]
	v_lshlrev_b64 v[18:19], 2, v[19:20]
	v_mad_u64_u32 v[20:21], s[0:1], s21, v9, v[0:1]
	v_or_b32_e32 v9, 24, v5
	v_mad_u64_u32 v[21:22], s[0:1], s20, v9, 0
	v_add_co_u32_e64 v28, s[0:1], v44, v18
	v_mov_b32_e32 v0, v22
	v_addc_co_u32_e64 v29, s[0:1], v45, v19, s[0:1]
	v_mov_b32_e32 v25, v20
	v_mad_u64_u32 v[22:23], s[0:1], s21, v9, v[0:1]
	v_or_b32_e32 v9, 26, v5
	v_lshlrev_b64 v[18:19], 2, v[24:25]
	v_mad_u64_u32 v[23:24], s[0:1], s20, v9, 0
	v_add_co_u32_e64 v30, s[0:1], v44, v18
	v_mov_b32_e32 v0, v24
	v_addc_co_u32_e64 v31, s[0:1], v45, v19, s[0:1]
	v_lshlrev_b64 v[18:19], 2, v[21:22]
	v_mad_u64_u32 v[20:21], s[0:1], s21, v9, v[0:1]
	v_or_b32_e32 v9, 28, v5
	v_mad_u64_u32 v[21:22], s[0:1], s20, v9, 0
	v_add_co_u32_e64 v32, s[0:1], v44, v18
	v_mov_b32_e32 v24, v20
	v_mov_b32_e32 v0, v22
	v_addc_co_u32_e64 v33, s[0:1], v45, v19, s[0:1]
	v_lshlrev_b64 v[18:19], 2, v[23:24]
	v_mad_u64_u32 v[22:23], s[0:1], s21, v9, v[0:1]
	v_or_b32_e32 v9, 30, v5
	v_mad_u64_u32 v[23:24], s[0:1], s20, v9, 0
	v_add_co_u32_e64 v34, s[0:1], v44, v18
	v_mov_b32_e32 v0, v24
	v_addc_co_u32_e64 v35, s[0:1], v45, v19, s[0:1]
	v_lshlrev_b64 v[18:19], 2, v[21:22]
	v_mad_u64_u32 v[20:21], s[0:1], s21, v9, v[0:1]
	v_add_co_u32_e64 v36, s[0:1], v44, v18
	v_or_b32_e32 v9, 32, v5
	v_addc_co_u32_e64 v37, s[0:1], v45, v19, s[0:1]
	v_mad_u64_u32 v[38:39], s[0:1], s20, v9, 0
	v_mov_b32_e32 v24, v20
	v_lshlrev_b64 v[18:19], 2, v[23:24]
	v_mov_b32_e32 v0, v39
	v_add_co_u32_e64 v40, s[0:1], v44, v18
	v_addc_co_u32_e64 v41, s[0:1], v45, v19, s[0:1]
	v_mad_u64_u32 v[42:43], s[0:1], s21, v9, v[0:1]
	global_load_dword v18, v[7:8], off
	global_load_dword v19, v[26:27], off
	;; [unrolled: 1-line block ×8, first 2 shown]
	s_waitcnt vmcnt(15)
	v_lshrrev_b32_e32 v0, 16, v17
	v_mov_b32_e32 v39, v42
	v_lshlrev_b64 v[7:8], 2, v[38:39]
	s_waitcnt vmcnt(14)
	v_lshrrev_b32_e32 v36, 16, v16
	v_add_co_u32_e64 v7, s[0:1], v44, v7
	v_addc_co_u32_e64 v8, s[0:1], v45, v8, s[0:1]
	global_load_dword v32, v[7:8], off
	s_waitcnt vmcnt(14)
	v_lshrrev_b32_e32 v35, 16, v15
	s_waitcnt vmcnt(13)
	v_lshrrev_b32_e32 v34, 16, v14
	;; [unrolled: 2-line block ×15, first 2 shown]
.LBB0_11:
	s_or_b64 exec, exec, s[14:15]
	v_mov_b32_e32 v7, v5
.LBB0_12:
	s_or_b64 exec, exec, s[6:7]
	s_mov_b32 s0, 0x88888889
	v_mul_hi_u32 v8, v6, s0
	v_cmp_gt_u32_e64 s[0:1], 2, v5
	v_lshrrev_b32_e32 v8, 3, v8
	v_mul_lo_u32 v8, v8, 15
	v_sub_u32_e32 v6, v6, v8
	v_mul_u32_u24_e32 v6, 34, v6
	v_lshlrev_b32_e32 v6, 1, v6
	s_and_saveexec_b64 s[6:7], s[0:1]
	s_cbranch_execz .LBB0_14
; %bb.13:
	v_sub_f16_e32 v9, v36, v42
	s_mov_b32 s9, 0xb964b5c8
	v_add_f16_e32 v8, v16, v32
	v_sub_f16_e32 v46, v35, v41
	s_mov_b32 s8, 0x39e93b76
	v_pk_mul_f16 v48, v9, s9 op_sel_hi:[0,1]
	s_mov_b32 s14, 0xbbf7b964
	v_add_f16_e32 v47, v15, v25
	s_mov_b32 s9, 0x2de839e9
	v_pk_mul_f16 v49, v46, s14 op_sel_hi:[0,1]
	v_pk_fma_f16 v43, v8, s8, v48 op_sel_hi:[0,1,1]
	s_mov_b32 s15, 0xba62bb29
	v_sub_f16_e32 v51, v34, v40
	v_pk_add_f16 v43, v17, v43 op_sel_hi:[0,1]
	v_pk_fma_f16 v44, v47, s9, v49 op_sel_hi:[0,1,1]
	v_add_f16_e32 v50, v14, v24
	s_mov_b32 s14, 0xb8d23722
	v_pk_mul_f16 v52, v51, s15 op_sel_hi:[0,1]
	s_mov_b32 s16, 0xb1e1bbf7
	v_sub_f16_e32 v54, v31, v39
	v_pk_add_f16 v43, v43, v44
	v_pk_fma_f16 v44, v50, s14, v52 op_sel_hi:[0,1,1]
	s_mov_b32 s15, 0xbbdd2de8
	v_add_f16_e32 v53, v13, v23
	v_pk_mul_f16 v55, v54, s16 op_sel_hi:[0,1]
	s_mov_b32 s17, 0x3836bbb2
	v_sub_f16_e32 v57, v30, v38
	v_pk_add_f16 v43, v43, v44
	v_pk_fma_f16 v44, v53, s15, v55 op_sel_hi:[0,1,1]
	s_mov_b32 s16, 0xbacdb461
	v_add_f16_e32 v56, v12, v22
	;; [unrolled: 7-line block ×4, first 2 shown]
	v_pk_mul_f16 v64, v63, s19 op_sel_hi:[0,1]
	s_mov_b32 s21, 0xbbf7bb29
	v_pk_add_f16 v43, v43, v44
	v_pk_fma_f16 v44, v62, s18, v64 op_sel_hi:[0,1,1]
	s_mov_b32 s19, 0x2de83722
	s_mov_b32 s22, 0xb1e1ba62
	v_pk_mul_f16 v65, v9, s21 op_sel_hi:[0,1]
	v_pk_add_f16 v43, v43, v44
	s_mov_b32 s20, 0xbbddb8d2
	v_pk_fma_f16 v44, v8, s19, v65 op_sel_hi:[0,1,1]
	v_pk_mul_f16 v66, v46, s22 op_sel_hi:[0,1]
	s_mov_b32 s21, 0x3bb231e1
	v_pk_add_f16 v44, v17, v44 op_sel_hi:[0,1]
	v_pk_fma_f16 v45, v47, s20, v66 op_sel_hi:[0,1,1]
	s_mov_b32 s22, 0xb461bbdd
	v_pk_mul_f16 v67, v51, s21 op_sel_hi:[0,1]
	s_mov_b32 s21, 0x35c83bb2
	v_pk_add_f16 v44, v44, v45
	v_pk_fma_f16 v45, v50, s22, v67 op_sel_hi:[0,1,1]
	s_mov_b32 s23, 0x3b76b461
	v_pk_mul_f16 v68, v54, s21 op_sel_hi:[0,1]
	s_mov_b32 s21, 0xbb293964
	v_pk_add_f16 v44, v44, v45
	;; [unrolled: 5-line block ×4, first 2 shown]
	v_pk_fma_f16 v45, v59, s25, v70 op_sel_hi:[0,1,1]
	s_mov_b32 s26, 0xb8d22de8
	v_pk_mul_f16 v71, v63, s21 op_sel_hi:[0,1]
	s_mov_b32 s29, 0x3964b836
	v_sub_f16_e32 v73, v26, v28
	v_pk_add_f16 v44, v44, v45
	v_pk_fma_f16 v45, v62, s26, v71 op_sel_hi:[0,1,1]
	s_mov_b32 s28, 0x35c8b1e1
	s_mov_b32 s27, 0x39e9bacd
	v_add_f16_e32 v72, v18, v19
	v_pk_mul_f16 v75, v73, s29 op_sel_hi:[0,1]
	v_pk_add_f16 v44, v44, v45
	s_mov_b32 s21, 0x3b76bbdd
	v_pk_mul_f16 v74, v73, s28 op_sel_hi:[0,1]
	v_pk_fma_f16 v76, v72, s27, v75 op_sel_hi:[0,1,1]
	s_mov_b32 s29, 0xba62bbb2
	v_pk_fma_f16 v45, v72, s21, v74 op_sel_hi:[0,1,1]
	v_pk_add_f16 v44, v44, v76
	s_mov_b32 s28, 0xb8d2b461
	s_mov_b32 s31, 0x3bb23836
	v_pk_mul_f16 v76, v9, s29 op_sel_hi:[0,1]
	v_pk_add_f16 v43, v43, v45
	s_mov_b32 s30, 0xb461bacd
	v_pk_fma_f16 v45, v8, s28, v76 op_sel_hi:[0,1,1]
	v_pk_mul_f16 v77, v46, s31 op_sel_hi:[0,1]
	v_pk_add_f16 v45, v17, v45 op_sel_hi:[0,1]
	v_pk_fma_f16 v78, v47, s30, v77 op_sel_hi:[0,1,1]
	s_mov_b32 s31, 0xb5c83964
	v_pk_add_f16 v45, v45, v78
	s_mov_b32 s29, 0x3b7639e9
	v_pk_mul_f16 v78, v51, s31 op_sel_hi:[0,1]
	v_pk_fma_f16 v79, v50, s29, v78 op_sel_hi:[0,1,1]
	s_mov_b32 s33, 0xb836bb29
	v_pk_add_f16 v45, v45, v79
	s_mov_b32 s31, 0xbacd3722
	v_pk_mul_f16 v79, v54, s33 op_sel_hi:[0,1]
	;; [unrolled: 5-line block ×6, first 2 shown]
	s_mov_b32 s38, 0xb1e1b836
	v_pk_fma_f16 v84, v72, s36, v83 op_sel_hi:[0,1,1]
	s_mov_b32 s37, 0xbbddbacd
	v_pk_mul_f16 v9, v9, s38 op_sel_hi:[0,1]
	s_mov_b32 s39, 0x35c83b29
	v_pk_add_f16 v45, v45, v84
	s_mov_b32 s38, 0x3b763722
	v_pk_mul_f16 v84, v46, s39 op_sel_hi:[0,1]
	v_pk_fma_f16 v46, v8, s37, v9 op_sel_hi:[0,1,1]
	s_mov_b32 s40, 0xb836bbf7
	v_pk_add_f16 v46, v17, v46 op_sel_hi:[0,1]
	v_pk_fma_f16 v85, v47, s38, v84 op_sel_hi:[0,1,1]
	s_mov_b32 s39, 0xbacd2de8
	v_pk_mul_f16 v51, v51, s40 op_sel_hi:[0,1]
	s_mov_b32 s41, 0x39643a62
	v_pk_add_f16 v46, v46, v85
	v_pk_fma_f16 v85, v50, s39, v51 op_sel_hi:[0,1,1]
	s_mov_b32 s40, 0x39e9b8d2
	v_pk_mul_f16 v54, v54, s41 op_sel_hi:[0,1]
	s_mov_b32 s42, 0xba62b5c8
	v_pk_add_f16 v46, v46, v85
	;; [unrolled: 5-line block ×5, first 2 shown]
	v_pk_fma_f16 v85, v62, s43, v63 op_sel_hi:[0,1,1]
	s_mov_b32 s44, 0x2de8b461
	v_pk_mul_f16 v73, v73, s45 op_sel_hi:[0,1]
	v_pk_add_f16 v46, v46, v85
	v_pk_fma_f16 v85, v72, s44, v73 op_sel_hi:[0,1,1]
	v_pk_add_f16 v46, v46, v85
	v_mul_u32_u24_e32 v85, 34, v5
	v_add3_u32 v85, 0, v85, v6
	ds_write_b128 v85, v[43:46] offset:2
	v_add_f16_e32 v43, v17, v16
	v_add_f16_e32 v43, v43, v15
	;; [unrolled: 1-line block ×16, first 2 shown]
	v_pk_fma_f16 v9, v8, s37, v9 op_sel_hi:[0,1,1] neg_lo:[0,0,1] neg_hi:[0,0,1]
	ds_write_b16 v85, v43
	v_pk_add_f16 v9, v17, v9 op_sel_hi:[0,1]
	v_pk_fma_f16 v43, v47, s38, v84 op_sel_hi:[0,1,1] neg_lo:[0,0,1] neg_hi:[0,0,1]
	v_pk_add_f16 v9, v9, v43
	v_pk_fma_f16 v43, v50, s39, v51 op_sel_hi:[0,1,1] neg_lo:[0,0,1] neg_hi:[0,0,1]
	v_pk_add_f16 v9, v9, v43
	;; [unrolled: 2-line block ×7, first 2 shown]
	v_pk_fma_f16 v43, v8, s28, v76 op_sel_hi:[0,1,1] neg_lo:[0,0,1] neg_hi:[0,0,1]
	v_pk_add_f16 v43, v17, v43 op_sel_hi:[0,1]
	v_pk_fma_f16 v44, v47, s30, v77 op_sel_hi:[0,1,1] neg_lo:[0,0,1] neg_hi:[0,0,1]
	v_pk_add_f16 v43, v43, v44
	v_pk_fma_f16 v44, v50, s29, v78 op_sel_hi:[0,1,1] neg_lo:[0,0,1] neg_hi:[0,0,1]
	v_pk_add_f16 v43, v43, v44
	;; [unrolled: 2-line block ×7, first 2 shown]
	v_alignbit_b32 v43, v9, v9, 16
	v_pk_fma_f16 v9, v8, s19, v65 op_sel_hi:[0,1,1] neg_lo:[0,0,1] neg_hi:[0,0,1]
	v_pk_add_f16 v9, v17, v9 op_sel_hi:[0,1]
	v_pk_fma_f16 v45, v47, s20, v66 op_sel_hi:[0,1,1] neg_lo:[0,0,1] neg_hi:[0,0,1]
	v_pk_add_f16 v9, v9, v45
	v_pk_fma_f16 v45, v50, s22, v67 op_sel_hi:[0,1,1] neg_lo:[0,0,1] neg_hi:[0,0,1]
	v_pk_add_f16 v9, v9, v45
	;; [unrolled: 2-line block ×7, first 2 shown]
	v_pk_fma_f16 v8, v8, s8, v48 op_sel_hi:[0,1,1] neg_lo:[0,0,1] neg_hi:[0,0,1]
	v_alignbit_b32 v45, v9, v9, 16
	v_pk_add_f16 v8, v17, v8 op_sel_hi:[0,1]
	v_pk_fma_f16 v9, v47, s9, v49 op_sel_hi:[0,1,1] neg_lo:[0,0,1] neg_hi:[0,0,1]
	v_pk_add_f16 v8, v8, v9
	v_pk_fma_f16 v9, v50, s14, v52 op_sel_hi:[0,1,1] neg_lo:[0,0,1] neg_hi:[0,0,1]
	v_pk_add_f16 v8, v8, v9
	;; [unrolled: 2-line block ×7, first 2 shown]
	v_alignbit_b32 v44, v44, v44, 16
	v_alignbit_b32 v46, v8, v8, 16
	ds_write_b128 v85, v[43:46] offset:18
.LBB0_14:
	s_or_b64 exec, exec, s[6:7]
	v_lshlrev_b32_e32 v8, 1, v5
	v_add3_u32 v17, 0, v6, v8
	v_add_u32_e32 v44, 0, v8
	s_waitcnt lgkmcnt(0)
	s_barrier
	v_add_u32_e32 v43, v44, v6
	ds_read_u16 v8, v17
	ds_read_u16 v9, v43 offset:34
	s_waitcnt lgkmcnt(0)
	s_barrier
	s_and_saveexec_b64 s[6:7], s[0:1]
	s_cbranch_execz .LBB0_16
; %bb.15:
	v_add_f16_e32 v45, v0, v36
	v_add_f16_e32 v45, v45, v35
	;; [unrolled: 1-line block ×4, first 2 shown]
	v_sub_f16_e32 v16, v16, v32
	s_mov_b32 s1, 0xb964b5c8
	v_add_f16_e32 v45, v45, v30
	v_add_f16_e32 v36, v36, v42
	v_sub_f16_e32 v15, v15, v25
	v_sub_f16_e32 v21, v11, v21
	s_mov_b32 s0, 0x39e93b76
	v_pk_mul_f16 v11, v16, s1 op_sel_hi:[0,1]
	s_mov_b32 s8, 0xbbf7b964
	v_add_f16_e32 v45, v45, v29
	v_add_f16_e32 v32, v35, v41
	v_sub_f16_e32 v22, v12, v22
	v_sub_f16_e32 v20, v10, v20
	v_pk_fma_f16 v10, v36, s0, v11 op_sel_hi:[0,1,1] neg_lo:[0,0,1] neg_hi:[0,0,1]
	s_mov_b32 s1, 0x2de839e9
	v_pk_mul_f16 v12, v15, s8 op_sel_hi:[0,1]
	v_add_f16_e32 v45, v45, v27
	v_sub_f16_e32 v14, v14, v24
	v_sub_f16_e32 v18, v18, v19
	v_pk_add_f16 v10, v0, v10 op_sel_hi:[0,1]
	v_pk_fma_f16 v19, v32, s1, v12 op_sel_hi:[0,1,1] neg_lo:[0,0,1] neg_hi:[0,0,1]
	s_mov_b32 s9, 0xba62bb29
	v_add_f16_e32 v45, v45, v26
	v_add_f16_e32 v25, v34, v40
	v_pk_add_f16 v10, v10, v19
	s_mov_b32 s8, 0xb8d23722
	v_pk_mul_f16 v19, v14, s9 op_sel_hi:[0,1]
	v_add_f16_e32 v45, v45, v28
	v_sub_f16_e32 v13, v13, v23
	v_add_f16_e32 v26, v26, v28
	v_pk_fma_f16 v28, v25, s8, v19 op_sel_hi:[0,1,1] neg_lo:[0,0,1] neg_hi:[0,0,1]
	s_mov_b32 s14, 0xb1e1bbf7
	v_add_f16_e32 v24, v31, v39
	v_pk_add_f16 v10, v10, v28
	s_mov_b32 s9, 0xbbdd2de8
	v_pk_mul_f16 v28, v13, s14 op_sel_hi:[0,1]
	v_add_f16_e32 v23, v30, v38
	v_pk_fma_f16 v30, v24, s9, v28 op_sel_hi:[0,1,1] neg_lo:[0,0,1] neg_hi:[0,0,1]
	s_mov_b32 s15, 0x3836bbb2
	v_pk_add_f16 v10, v10, v30
	s_mov_b32 s14, 0xbacdb461
	v_pk_mul_f16 v30, v22, s15 op_sel_hi:[0,1]
	v_pk_fma_f16 v11, v36, s0, v11 op_sel_hi:[0,1,1]
	v_pk_fma_f16 v31, v23, s14, v30 op_sel_hi:[0,1,1] neg_lo:[0,0,1] neg_hi:[0,0,1]
	s_mov_b32 s16, 0x3bb2ba62
	v_pk_add_f16 v11, v0, v11 op_sel_hi:[0,1]
	v_pk_fma_f16 v12, v32, s1, v12 op_sel_hi:[0,1,1]
	v_add_f16_e32 v29, v29, v37
	v_pk_add_f16 v10, v10, v31
	s_mov_b32 s15, 0xb461b8d2
	v_pk_mul_f16 v31, v21, s16 op_sel_hi:[0,1]
	v_pk_add_f16 v11, v11, v12
	v_pk_fma_f16 v12, v25, s8, v19 op_sel_hi:[0,1,1]
	v_add_f16_e32 v45, v33, v45
	v_add_f16_e32 v27, v27, v33
	v_pk_fma_f16 v33, v29, s15, v31 op_sel_hi:[0,1,1] neg_lo:[0,0,1] neg_hi:[0,0,1]
	s_mov_b32 s17, 0x3b29b836
	v_pk_add_f16 v11, v11, v12
	v_pk_fma_f16 v12, v24, s9, v28 op_sel_hi:[0,1,1]
	v_pk_add_f16 v10, v10, v33
	s_mov_b32 s16, 0x3722bacd
	v_pk_mul_f16 v33, v20, s17 op_sel_hi:[0,1]
	v_pk_add_f16 v11, v11, v12
	v_pk_fma_f16 v12, v23, s14, v30 op_sel_hi:[0,1,1]
	v_pk_fma_f16 v34, v27, s16, v33 op_sel_hi:[0,1,1] neg_lo:[0,0,1] neg_hi:[0,0,1]
	s_mov_b32 s18, 0x35c8b1e1
	v_pk_add_f16 v11, v11, v12
	v_pk_fma_f16 v12, v29, s15, v31 op_sel_hi:[0,1,1]
	v_pk_add_f16 v10, v10, v34
	s_mov_b32 s17, 0x3b76bbdd
	v_pk_mul_f16 v34, v18, s18 op_sel_hi:[0,1]
	v_pk_add_f16 v11, v11, v12
	v_pk_fma_f16 v12, v27, s16, v33 op_sel_hi:[0,1,1]
	v_pk_add_f16 v11, v11, v12
	v_pk_fma_f16 v12, v26, s17, v34 op_sel_hi:[0,1,1]
	s_mov_b32 s1, 0xbbf7bb29
	v_pk_add_f16 v19, v11, v12
	s_mov_b32 s0, 0x2de83722
	v_pk_mul_f16 v12, v16, s1 op_sel_hi:[0,1]
	s_mov_b32 s8, 0xb1e1ba62
	v_pk_fma_f16 v11, v36, s0, v12 op_sel_hi:[0,1,1] neg_lo:[0,0,1] neg_hi:[0,0,1]
	s_mov_b32 s1, 0xbbddb8d2
	v_pk_mul_f16 v28, v15, s8 op_sel_hi:[0,1]
	v_pk_add_f16 v11, v0, v11 op_sel_hi:[0,1]
	v_pk_fma_f16 v30, v32, s1, v28 op_sel_hi:[0,1,1] neg_lo:[0,0,1] neg_hi:[0,0,1]
	s_mov_b32 s9, 0x3bb231e1
	v_pk_add_f16 v11, v11, v30
	s_mov_b32 s8, 0xb461bbdd
	v_pk_mul_f16 v30, v14, s9 op_sel_hi:[0,1]
	v_pk_fma_f16 v31, v25, s8, v30 op_sel_hi:[0,1,1] neg_lo:[0,0,1] neg_hi:[0,0,1]
	s_mov_b32 s14, 0x35c83bb2
	v_pk_add_f16 v11, v11, v31
	s_mov_b32 s9, 0x3b76b461
	v_pk_mul_f16 v31, v13, s14 op_sel_hi:[0,1]
	;; [unrolled: 5-line block ×3, first 2 shown]
	v_pk_fma_f16 v12, v36, s0, v12 op_sel_hi:[0,1,1]
	v_pk_fma_f16 v35, v26, s17, v34 op_sel_hi:[0,1,1] neg_lo:[0,0,1] neg_hi:[0,0,1]
	v_pk_fma_f16 v34, v23, s14, v33 op_sel_hi:[0,1,1] neg_lo:[0,0,1] neg_hi:[0,0,1]
	s_mov_b32 s16, 0xb836b5c8
	v_pk_add_f16 v12, v0, v12 op_sel_hi:[0,1]
	v_pk_fma_f16 v28, v32, s1, v28 op_sel_hi:[0,1,1]
	v_pk_add_f16 v11, v11, v34
	s_mov_b32 s15, 0xbacd3b76
	v_pk_mul_f16 v34, v21, s16 op_sel_hi:[0,1]
	v_pk_add_f16 v12, v12, v28
	v_pk_fma_f16 v28, v25, s8, v30 op_sel_hi:[0,1,1]
	v_pk_add_f16 v10, v10, v35
	v_pk_fma_f16 v35, v29, s15, v34 op_sel_hi:[0,1,1] neg_lo:[0,0,1] neg_hi:[0,0,1]
	s_mov_b32 s17, 0x3a62bbf7
	v_pk_add_f16 v12, v12, v28
	v_pk_fma_f16 v28, v24, s9, v31 op_sel_hi:[0,1,1]
	v_pk_add_f16 v11, v11, v35
	s_mov_b32 s16, 0xb8d22de8
	v_pk_mul_f16 v35, v20, s17 op_sel_hi:[0,1]
	v_pk_add_f16 v12, v12, v28
	v_pk_fma_f16 v28, v23, s14, v33 op_sel_hi:[0,1,1]
	v_add_f16_e32 v45, v37, v45
	v_pk_fma_f16 v37, v27, s16, v35 op_sel_hi:[0,1,1] neg_lo:[0,0,1] neg_hi:[0,0,1]
	s_mov_b32 s18, 0x3964b836
	v_pk_add_f16 v12, v12, v28
	v_pk_fma_f16 v28, v29, s15, v34 op_sel_hi:[0,1,1]
	v_pk_add_f16 v11, v11, v37
	s_mov_b32 s17, 0x39e9bacd
	v_pk_mul_f16 v37, v18, s18 op_sel_hi:[0,1]
	v_pk_add_f16 v12, v12, v28
	v_pk_fma_f16 v28, v27, s16, v35 op_sel_hi:[0,1,1]
	s_mov_b32 s1, 0xba62bbb2
	v_pk_add_f16 v12, v12, v28
	v_pk_fma_f16 v28, v26, s17, v37 op_sel_hi:[0,1,1]
	s_mov_b32 s0, 0xb8d2b461
	v_pk_mul_f16 v30, v16, s1 op_sel_hi:[0,1]
	s_mov_b32 s8, 0x3bb23836
	v_pk_add_f16 v28, v12, v28
	v_pk_fma_f16 v12, v36, s0, v30 op_sel_hi:[0,1,1] neg_lo:[0,0,1] neg_hi:[0,0,1]
	s_mov_b32 s1, 0xb461bacd
	v_pk_mul_f16 v31, v15, s8 op_sel_hi:[0,1]
	v_pk_add_f16 v12, v0, v12 op_sel_hi:[0,1]
	v_pk_fma_f16 v33, v32, s1, v31 op_sel_hi:[0,1,1] neg_lo:[0,0,1] neg_hi:[0,0,1]
	s_mov_b32 s9, 0xb5c83964
	v_pk_add_f16 v12, v12, v33
	s_mov_b32 s8, 0x3b7639e9
	v_pk_mul_f16 v33, v14, s9 op_sel_hi:[0,1]
	v_pk_fma_f16 v34, v25, s8, v33 op_sel_hi:[0,1,1] neg_lo:[0,0,1] neg_hi:[0,0,1]
	s_mov_b32 s14, 0xb836bb29
	v_pk_add_f16 v12, v12, v34
	s_mov_b32 s9, 0xbacd3722
	v_pk_mul_f16 v34, v13, s14 op_sel_hi:[0,1]
	;; [unrolled: 5-line block ×3, first 2 shown]
	v_pk_fma_f16 v30, v36, s0, v30 op_sel_hi:[0,1,1]
	v_add_f16_e32 v45, v38, v45
	v_pk_fma_f16 v38, v26, s17, v37 op_sel_hi:[0,1,1] neg_lo:[0,0,1] neg_hi:[0,0,1]
	v_pk_fma_f16 v37, v23, s14, v35 op_sel_hi:[0,1,1] neg_lo:[0,0,1] neg_hi:[0,0,1]
	s_mov_b32 s16, 0xb9643bf7
	v_pk_add_f16 v30, v0, v30 op_sel_hi:[0,1]
	v_pk_fma_f16 v31, v32, s1, v31 op_sel_hi:[0,1,1]
	v_pk_add_f16 v12, v12, v37
	s_mov_b32 s15, 0x39e92de8
	v_pk_mul_f16 v37, v21, s16 op_sel_hi:[0,1]
	v_pk_add_f16 v30, v30, v31
	v_pk_fma_f16 v31, v25, s8, v33 op_sel_hi:[0,1,1]
	v_pk_add_f16 v11, v11, v38
	v_pk_fma_f16 v38, v29, s15, v37 op_sel_hi:[0,1,1] neg_lo:[0,0,1] neg_hi:[0,0,1]
	s_mov_b32 s17, 0xb1e1b5c8
	v_pk_add_f16 v30, v30, v31
	v_pk_fma_f16 v31, v24, s9, v34 op_sel_hi:[0,1,1]
	v_pk_add_f16 v12, v12, v38
	s_mov_b32 s16, 0xbbdd3b76
	v_pk_mul_f16 v38, v20, s17 op_sel_hi:[0,1]
	v_pk_add_f16 v30, v30, v31
	v_pk_fma_f16 v31, v23, s14, v35 op_sel_hi:[0,1,1]
	v_add_f16_e32 v45, v39, v45
	v_pk_fma_f16 v39, v27, s16, v38 op_sel_hi:[0,1,1] neg_lo:[0,0,1] neg_hi:[0,0,1]
	s_mov_b32 s18, 0x3b29ba62
	v_pk_add_f16 v30, v30, v31
	v_pk_fma_f16 v31, v29, s15, v37 op_sel_hi:[0,1,1]
	v_pk_add_f16 v12, v12, v39
	s_mov_b32 s17, 0x3722b8d2
	v_pk_mul_f16 v39, v18, s18 op_sel_hi:[0,1]
	v_pk_add_f16 v30, v30, v31
	v_pk_fma_f16 v31, v27, s16, v38 op_sel_hi:[0,1,1]
	s_mov_b32 s1, 0xb1e1b836
	v_pk_add_f16 v30, v30, v31
	v_pk_fma_f16 v31, v26, s17, v39 op_sel_hi:[0,1,1]
	s_mov_b32 s0, 0xbbddbacd
	v_pk_mul_f16 v16, v16, s1 op_sel_hi:[0,1]
	s_mov_b32 s8, 0x35c83b29
	v_pk_add_f16 v30, v30, v31
	v_pk_fma_f16 v31, v36, s0, v16 op_sel_hi:[0,1,1] neg_lo:[0,0,1] neg_hi:[0,0,1]
	s_mov_b32 s1, 0x3b763722
	v_pk_mul_f16 v15, v15, s8 op_sel_hi:[0,1]
	s_mov_b32 s9, 0xb836bbf7
	v_pk_add_f16 v31, v0, v31 op_sel_hi:[0,1]
	v_pk_fma_f16 v33, v32, s1, v15 op_sel_hi:[0,1,1] neg_lo:[0,0,1] neg_hi:[0,0,1]
	s_mov_b32 s8, 0xbacd2de8
	v_pk_mul_f16 v14, v14, s9 op_sel_hi:[0,1]
	v_pk_fma_f16 v16, v36, s0, v16 op_sel_hi:[0,1,1]
	v_pk_add_f16 v31, v31, v33
	v_pk_fma_f16 v33, v25, s8, v14 op_sel_hi:[0,1,1] neg_lo:[0,0,1] neg_hi:[0,0,1]
	s_mov_b32 s14, 0x39643a62
	v_pk_add_f16 v0, v0, v16 op_sel_hi:[0,1]
	v_pk_fma_f16 v15, v32, s1, v15 op_sel_hi:[0,1,1]
	v_pk_add_f16 v31, v31, v33
	s_mov_b32 s9, 0x39e9b8d2
	v_pk_mul_f16 v33, v13, s14 op_sel_hi:[0,1]
	s_mov_b32 s15, 0xba62b5c8
	v_pk_add_f16 v0, v0, v15
	v_pk_fma_f16 v14, v25, s8, v14 op_sel_hi:[0,1,1]
	s_mov_b32 s14, 0xb8d23b76
	v_pk_mul_f16 v22, v22, s15 op_sel_hi:[0,1]
	s_mov_b32 s16, 0x3b29b1e1
	v_pk_add_f16 v0, v0, v14
	v_pk_fma_f16 v14, v24, s9, v33 op_sel_hi:[0,1,1]
	v_add_f16_e32 v45, v40, v45
	v_pk_fma_f16 v40, v26, s17, v39 op_sel_hi:[0,1,1] neg_lo:[0,0,1] neg_hi:[0,0,1]
	v_pk_fma_f16 v13, v24, s9, v33 op_sel_hi:[0,1,1] neg_lo:[0,0,1] neg_hi:[0,0,1]
	s_mov_b32 s15, 0x3722bbdd
	v_pk_mul_f16 v21, v21, s16 op_sel_hi:[0,1]
	s_mov_b32 s17, 0xbbb23964
	v_pk_add_f16 v0, v0, v14
	v_pk_fma_f16 v14, v23, s14, v22 op_sel_hi:[0,1,1]
	v_pk_add_f16 v13, v31, v13
	v_pk_fma_f16 v31, v23, s14, v22 op_sel_hi:[0,1,1] neg_lo:[0,0,1] neg_hi:[0,0,1]
	s_mov_b32 s16, 0xb46139e9
	v_pk_mul_f16 v20, v20, s17 op_sel_hi:[0,1]
	s_mov_b32 s18, 0x3bf7bbb2
	v_pk_add_f16 v0, v0, v14
	v_pk_fma_f16 v14, v29, s15, v21 op_sel_hi:[0,1,1]
	v_pk_add_f16 v13, v13, v31
	v_pk_fma_f16 v31, v29, s15, v21 op_sel_hi:[0,1,1] neg_lo:[0,0,1] neg_hi:[0,0,1]
	s_mov_b32 s17, 0x2de8b461
	v_pk_mul_f16 v18, v18, s18 op_sel_hi:[0,1]
	v_pk_add_f16 v0, v0, v14
	v_pk_fma_f16 v14, v27, s16, v20 op_sel_hi:[0,1,1]
	v_pk_add_f16 v13, v13, v31
	v_pk_fma_f16 v31, v27, s16, v20 op_sel_hi:[0,1,1] neg_lo:[0,0,1] neg_hi:[0,0,1]
	v_pk_add_f16 v0, v0, v14
	v_pk_fma_f16 v14, v26, s17, v18 op_sel_hi:[0,1,1]
	v_add_f16_e32 v45, v41, v45
	v_pk_add_f16 v13, v13, v31
	v_pk_fma_f16 v31, v26, s17, v18 op_sel_hi:[0,1,1] neg_lo:[0,0,1] neg_hi:[0,0,1]
	v_pk_add_f16 v0, v0, v14
	v_lshlrev_b32_e32 v14, 5, v5
	v_add_f16_e32 v45, v42, v45
	v_pk_add_f16 v12, v12, v40
	v_pk_add_f16 v13, v13, v31
	v_add3_u32 v6, v44, v14, v6
	ds_write_b16 v6, v45
	ds_write_b128 v6, v[10:13] offset:2
	v_alignbit_b32 v10, v0, v0, 16
	v_alignbit_b32 v11, v30, v30, 16
	;; [unrolled: 1-line block ×4, first 2 shown]
	ds_write_b128 v6, v[10:13] offset:18
.LBB0_16:
	s_or_b64 exec, exec, s[6:7]
	s_waitcnt lgkmcnt(0)
	s_barrier
	s_and_saveexec_b64 s[0:1], vcc
	s_cbranch_execz .LBB0_18
; %bb.17:
	v_mov_b32_e32 v6, 0
	v_lshlrev_b64 v[5:6], 2, v[5:6]
	v_mov_b32_e32 v0, s13
	v_add_co_u32_e32 v5, vcc, s12, v5
	v_addc_co_u32_e32 v6, vcc, v0, v6, vcc
	global_load_dword v13, v[5:6], off
	v_mul_lo_u32 v12, s5, v3
	v_mul_lo_u32 v14, s4, v4
	v_mad_u64_u32 v[3:4], s[0:1], s4, v3, 0
	v_mad_u64_u32 v[5:6], s[0:1], s2, v7, 0
	v_add_u32_e32 v18, 17, v7
	v_mad_u64_u32 v[10:11], s[0:1], s2, v18, 0
	v_lshlrev_b64 v[0:1], 2, v[1:2]
	v_add3_u32 v4, v4, v14, v12
	v_mov_b32_e32 v2, v6
	v_mad_u64_u32 v[6:7], s[0:1], s3, v7, v[2:3]
	v_lshlrev_b64 v[2:3], 2, v[3:4]
	ds_read_u16 v15, v43 offset:34
	ds_read_u16 v16, v17
	v_mov_b32_e32 v17, s11
	v_mov_b32_e32 v4, v11
	v_add_co_u32_e32 v2, vcc, s10, v2
	v_mad_u64_u32 v[11:12], s[0:1], s3, v18, v[4:5]
	v_addc_co_u32_e32 v3, vcc, v17, v3, vcc
	v_add_co_u32_e32 v4, vcc, v2, v0
	v_addc_co_u32_e32 v7, vcc, v3, v1, vcc
	v_lshlrev_b64 v[0:1], 2, v[5:6]
	v_lshlrev_b64 v[2:3], 2, v[10:11]
	v_add_co_u32_e32 v0, vcc, v4, v0
	v_addc_co_u32_e32 v1, vcc, v7, v1, vcc
	v_add_co_u32_e32 v2, vcc, v4, v2
	v_addc_co_u32_e32 v3, vcc, v7, v3, vcc
	s_waitcnt vmcnt(0)
	v_lshrrev_b32_e32 v4, 16, v13
	v_mul_f16_e32 v5, v9, v13
	s_waitcnt lgkmcnt(1)
	v_fma_f16 v5, v15, v4, v5
	v_mul_f16_e32 v4, v9, v4
	v_fma_f16 v4, v15, v13, -v4
	v_sub_f16_e32 v5, v8, v5
	s_waitcnt lgkmcnt(0)
	v_sub_f16_e32 v4, v16, v4
	v_fma_f16 v6, v8, 2.0, -v5
	v_fma_f16 v7, v16, 2.0, -v4
	v_pack_b32_f16 v4, v5, v4
	v_pack_b32_f16 v5, v6, v7
	global_store_dword v[0:1], v5, off
	global_store_dword v[2:3], v4, off
.LBB0_18:
	s_endpgm
	.section	.rodata,"a",@progbits
	.p2align	6, 0x0
	.amdhsa_kernel fft_rtc_back_len34_factors_17_2_wgs_255_tpt_17_halfLds_half_op_CI_CI_sbrr_dirReg
		.amdhsa_group_segment_fixed_size 0
		.amdhsa_private_segment_fixed_size 0
		.amdhsa_kernarg_size 104
		.amdhsa_user_sgpr_count 6
		.amdhsa_user_sgpr_private_segment_buffer 1
		.amdhsa_user_sgpr_dispatch_ptr 0
		.amdhsa_user_sgpr_queue_ptr 0
		.amdhsa_user_sgpr_kernarg_segment_ptr 1
		.amdhsa_user_sgpr_dispatch_id 0
		.amdhsa_user_sgpr_flat_scratch_init 0
		.amdhsa_user_sgpr_private_segment_size 0
		.amdhsa_uses_dynamic_stack 0
		.amdhsa_system_sgpr_private_segment_wavefront_offset 0
		.amdhsa_system_sgpr_workgroup_id_x 1
		.amdhsa_system_sgpr_workgroup_id_y 0
		.amdhsa_system_sgpr_workgroup_id_z 0
		.amdhsa_system_sgpr_workgroup_info 0
		.amdhsa_system_vgpr_workitem_id 0
		.amdhsa_next_free_vgpr 86
		.amdhsa_next_free_sgpr 46
		.amdhsa_reserve_vcc 1
		.amdhsa_reserve_flat_scratch 0
		.amdhsa_float_round_mode_32 0
		.amdhsa_float_round_mode_16_64 0
		.amdhsa_float_denorm_mode_32 3
		.amdhsa_float_denorm_mode_16_64 3
		.amdhsa_dx10_clamp 1
		.amdhsa_ieee_mode 1
		.amdhsa_fp16_overflow 0
		.amdhsa_exception_fp_ieee_invalid_op 0
		.amdhsa_exception_fp_denorm_src 0
		.amdhsa_exception_fp_ieee_div_zero 0
		.amdhsa_exception_fp_ieee_overflow 0
		.amdhsa_exception_fp_ieee_underflow 0
		.amdhsa_exception_fp_ieee_inexact 0
		.amdhsa_exception_int_div_zero 0
	.end_amdhsa_kernel
	.text
.Lfunc_end0:
	.size	fft_rtc_back_len34_factors_17_2_wgs_255_tpt_17_halfLds_half_op_CI_CI_sbrr_dirReg, .Lfunc_end0-fft_rtc_back_len34_factors_17_2_wgs_255_tpt_17_halfLds_half_op_CI_CI_sbrr_dirReg
                                        ; -- End function
	.section	.AMDGPU.csdata,"",@progbits
; Kernel info:
; codeLenInByte = 6876
; NumSgprs: 50
; NumVgprs: 86
; ScratchSize: 0
; MemoryBound: 0
; FloatMode: 240
; IeeeMode: 1
; LDSByteSize: 0 bytes/workgroup (compile time only)
; SGPRBlocks: 6
; VGPRBlocks: 21
; NumSGPRsForWavesPerEU: 50
; NumVGPRsForWavesPerEU: 86
; Occupancy: 2
; WaveLimiterHint : 1
; COMPUTE_PGM_RSRC2:SCRATCH_EN: 0
; COMPUTE_PGM_RSRC2:USER_SGPR: 6
; COMPUTE_PGM_RSRC2:TRAP_HANDLER: 0
; COMPUTE_PGM_RSRC2:TGID_X_EN: 1
; COMPUTE_PGM_RSRC2:TGID_Y_EN: 0
; COMPUTE_PGM_RSRC2:TGID_Z_EN: 0
; COMPUTE_PGM_RSRC2:TIDIG_COMP_CNT: 0
	.type	__hip_cuid_b4c6410bf20785ba,@object ; @__hip_cuid_b4c6410bf20785ba
	.section	.bss,"aw",@nobits
	.globl	__hip_cuid_b4c6410bf20785ba
__hip_cuid_b4c6410bf20785ba:
	.byte	0                               ; 0x0
	.size	__hip_cuid_b4c6410bf20785ba, 1

	.ident	"AMD clang version 19.0.0git (https://github.com/RadeonOpenCompute/llvm-project roc-6.4.0 25133 c7fe45cf4b819c5991fe208aaa96edf142730f1d)"
	.section	".note.GNU-stack","",@progbits
	.addrsig
	.addrsig_sym __hip_cuid_b4c6410bf20785ba
	.amdgpu_metadata
---
amdhsa.kernels:
  - .args:
      - .actual_access:  read_only
        .address_space:  global
        .offset:         0
        .size:           8
        .value_kind:     global_buffer
      - .offset:         8
        .size:           8
        .value_kind:     by_value
      - .actual_access:  read_only
        .address_space:  global
        .offset:         16
        .size:           8
        .value_kind:     global_buffer
      - .actual_access:  read_only
        .address_space:  global
        .offset:         24
        .size:           8
        .value_kind:     global_buffer
      - .actual_access:  read_only
        .address_space:  global
        .offset:         32
        .size:           8
        .value_kind:     global_buffer
      - .offset:         40
        .size:           8
        .value_kind:     by_value
      - .actual_access:  read_only
        .address_space:  global
        .offset:         48
        .size:           8
        .value_kind:     global_buffer
      - .actual_access:  read_only
        .address_space:  global
        .offset:         56
        .size:           8
        .value_kind:     global_buffer
      - .offset:         64
        .size:           4
        .value_kind:     by_value
      - .actual_access:  read_only
        .address_space:  global
        .offset:         72
        .size:           8
        .value_kind:     global_buffer
      - .actual_access:  read_only
        .address_space:  global
        .offset:         80
        .size:           8
        .value_kind:     global_buffer
      - .actual_access:  read_only
        .address_space:  global
        .offset:         88
        .size:           8
        .value_kind:     global_buffer
      - .actual_access:  write_only
        .address_space:  global
        .offset:         96
        .size:           8
        .value_kind:     global_buffer
    .group_segment_fixed_size: 0
    .kernarg_segment_align: 8
    .kernarg_segment_size: 104
    .language:       OpenCL C
    .language_version:
      - 2
      - 0
    .max_flat_workgroup_size: 255
    .name:           fft_rtc_back_len34_factors_17_2_wgs_255_tpt_17_halfLds_half_op_CI_CI_sbrr_dirReg
    .private_segment_fixed_size: 0
    .sgpr_count:     50
    .sgpr_spill_count: 0
    .symbol:         fft_rtc_back_len34_factors_17_2_wgs_255_tpt_17_halfLds_half_op_CI_CI_sbrr_dirReg.kd
    .uniform_work_group_size: 1
    .uses_dynamic_stack: false
    .vgpr_count:     86
    .vgpr_spill_count: 0
    .wavefront_size: 64
amdhsa.target:   amdgcn-amd-amdhsa--gfx906
amdhsa.version:
  - 1
  - 2
...

	.end_amdgpu_metadata
